;; amdgpu-corpus repo=ROCm/rocFFT kind=compiled arch=gfx906 opt=O3
	.text
	.amdgcn_target "amdgcn-amd-amdhsa--gfx906"
	.amdhsa_code_object_version 6
	.protected	fft_rtc_fwd_len336_factors_7_8_2_3_wgs_252_tpt_42_halfLds_dim3_dp_op_CI_CI_sbcc_twdbase8_2step_dirReg_intrinsicReadWrite ; -- Begin function fft_rtc_fwd_len336_factors_7_8_2_3_wgs_252_tpt_42_halfLds_dim3_dp_op_CI_CI_sbcc_twdbase8_2step_dirReg_intrinsicReadWrite
	.globl	fft_rtc_fwd_len336_factors_7_8_2_3_wgs_252_tpt_42_halfLds_dim3_dp_op_CI_CI_sbcc_twdbase8_2step_dirReg_intrinsicReadWrite
	.p2align	8
	.type	fft_rtc_fwd_len336_factors_7_8_2_3_wgs_252_tpt_42_halfLds_dim3_dp_op_CI_CI_sbcc_twdbase8_2step_dirReg_intrinsicReadWrite,@function
fft_rtc_fwd_len336_factors_7_8_2_3_wgs_252_tpt_42_halfLds_dim3_dp_op_CI_CI_sbcc_twdbase8_2step_dirReg_intrinsicReadWrite: ; @fft_rtc_fwd_len336_factors_7_8_2_3_wgs_252_tpt_42_halfLds_dim3_dp_op_CI_CI_sbcc_twdbase8_2step_dirReg_intrinsicReadWrite
; %bb.0:
	s_load_dwordx4 s[0:3], s[4:5], 0x10
	s_mov_b32 s7, 0
	s_mov_b64 s[24:25], 0
	s_waitcnt lgkmcnt(0)
	s_load_dwordx2 s[22:23], s[0:1], 0x8
	s_waitcnt lgkmcnt(0)
	s_add_u32 s8, s22, -1
	s_addc_u32 s9, s23, -1
	s_add_u32 s10, 0, 0xaaa80000
	s_addc_u32 s11, 0, 0xaa
	s_mul_hi_u32 s13, s10, -6
	s_add_i32 s11, s11, 0x2aaaaa00
	s_sub_i32 s13, s13, s10
	s_mul_i32 s16, s11, -6
	s_mul_i32 s12, s10, -6
	s_add_i32 s13, s13, s16
	s_mul_hi_u32 s14, s11, s12
	s_mul_i32 s15, s11, s12
	s_mul_i32 s17, s10, s13
	s_mul_hi_u32 s12, s10, s12
	s_mul_hi_u32 s16, s10, s13
	s_add_u32 s12, s12, s17
	s_addc_u32 s16, 0, s16
	s_add_u32 s12, s12, s15
	s_mul_hi_u32 s17, s11, s13
	s_addc_u32 s12, s16, s14
	s_addc_u32 s14, s17, 0
	s_mul_i32 s13, s11, s13
	s_add_u32 s12, s12, s13
	v_mov_b32_e32 v1, s12
	s_addc_u32 s13, 0, s14
	v_add_co_u32_e32 v1, vcc, s10, v1
	s_cmp_lg_u64 vcc, 0
	s_addc_u32 s10, s11, s13
	v_readfirstlane_b32 s13, v1
	s_mul_i32 s12, s8, s10
	s_mul_hi_u32 s14, s8, s13
	s_mul_hi_u32 s11, s8, s10
	s_add_u32 s12, s14, s12
	s_addc_u32 s11, 0, s11
	s_mul_hi_u32 s15, s9, s13
	s_mul_i32 s13, s9, s13
	s_add_u32 s12, s12, s13
	s_mul_hi_u32 s14, s9, s10
	s_addc_u32 s11, s11, s15
	s_addc_u32 s12, s14, 0
	s_mul_i32 s10, s9, s10
	s_add_u32 s10, s11, s10
	s_addc_u32 s11, 0, s12
	s_add_u32 s12, s10, 1
	s_addc_u32 s13, s11, 0
	s_add_u32 s14, s10, 2
	s_mul_i32 s16, s11, 6
	s_mul_hi_u32 s17, s10, 6
	s_addc_u32 s15, s11, 0
	s_add_i32 s17, s17, s16
	s_mul_i32 s16, s10, 6
	v_mov_b32_e32 v1, s16
	v_sub_co_u32_e32 v1, vcc, s8, v1
	s_cmp_lg_u64 vcc, 0
	s_subb_u32 s8, s9, s17
	v_subrev_co_u32_e32 v2, vcc, 6, v1
	s_cmp_lg_u64 vcc, 0
	s_subb_u32 s9, s8, 0
	v_readfirstlane_b32 s16, v2
	s_cmp_gt_u32 s16, 5
	s_cselect_b32 s16, -1, 0
	s_cmp_eq_u32 s9, 0
	s_cselect_b32 s9, s16, -1
	s_cmp_lg_u32 s9, 0
	s_cselect_b32 s9, s14, s12
	s_cselect_b32 s12, s15, s13
	v_readfirstlane_b32 s13, v1
	s_cmp_gt_u32 s13, 5
	s_cselect_b32 s13, -1, 0
	s_cmp_eq_u32 s8, 0
	s_cselect_b32 s8, s13, -1
	s_cmp_lg_u32 s8, 0
	s_cselect_b32 s9, s9, s10
	s_cselect_b32 s8, s12, s11
	s_add_u32 s10, s9, 1
	s_addc_u32 s11, s8, 0
	v_mov_b32_e32 v1, s10
	v_mov_b32_e32 v2, s11
	v_cmp_lt_u64_e32 vcc, s[6:7], v[1:2]
	s_cbranch_vccnz .LBB0_2
; %bb.1:
	v_cvt_f32_u32_e32 v1, s10
	s_sub_i32 s8, 0, s10
	s_mov_b32 s25, s7
	v_rcp_iflag_f32_e32 v1, v1
	v_mul_f32_e32 v1, 0x4f7ffffe, v1
	v_cvt_u32_f32_e32 v1, v1
	v_readfirstlane_b32 s9, v1
	s_mul_i32 s8, s8, s9
	s_mul_hi_u32 s8, s9, s8
	s_add_i32 s9, s9, s8
	s_mul_hi_u32 s8, s6, s9
	s_mul_i32 s12, s8, s10
	s_sub_i32 s12, s6, s12
	s_add_i32 s9, s8, 1
	s_sub_i32 s13, s12, s10
	s_cmp_ge_u32 s12, s10
	s_cselect_b32 s8, s9, s8
	s_cselect_b32 s12, s13, s12
	s_add_i32 s9, s8, 1
	s_cmp_ge_u32 s12, s10
	s_cselect_b32 s24, s9, s8
.LBB0_2:
	s_load_dwordx2 s[18:19], s[0:1], 0x10
	s_load_dwordx2 s[16:17], s[4:5], 0x20
	;; [unrolled: 1-line block ×3, first 2 shown]
	s_load_dwordx4 s[12:15], s[2:3], 0x0
	s_mov_b64 s[20:21], s[24:25]
	s_waitcnt lgkmcnt(0)
	v_mov_b32_e32 v1, s18
	v_mov_b32_e32 v2, s19
	v_cmp_lt_u64_e32 vcc, s[24:25], v[1:2]
	s_cbranch_vccnz .LBB0_4
; %bb.3:
	v_cvt_f32_u32_e32 v1, s18
	s_sub_i32 s0, 0, s18
	v_rcp_iflag_f32_e32 v1, v1
	v_mul_f32_e32 v1, 0x4f7ffffe, v1
	v_cvt_u32_f32_e32 v1, v1
	v_readfirstlane_b32 s1, v1
	s_mul_i32 s0, s0, s1
	s_mul_hi_u32 s0, s1, s0
	s_add_i32 s1, s1, s0
	s_mul_hi_u32 s0, s24, s1
	s_mul_i32 s0, s0, s18
	s_sub_i32 s0, s24, s0
	s_sub_i32 s1, s0, s18
	s_cmp_ge_u32 s0, s18
	s_cselect_b32 s0, s1, s0
	s_sub_i32 s1, s0, s18
	s_cmp_ge_u32 s0, s18
	s_cselect_b32 s20, s1, s0
.LBB0_4:
	s_mul_i32 s0, s18, s11
	s_mul_hi_u32 s1, s18, s10
	s_add_i32 s0, s1, s0
	s_mul_i32 s1, s19, s10
	s_mul_i32 s26, s18, s10
	s_add_i32 s27, s0, s1
	s_load_dwordx2 s[0:1], s[2:3], 0x10
	v_mov_b32_e32 v1, s26
	v_mov_b32_e32 v2, s27
	v_cmp_lt_u64_e32 vcc, s[6:7], v[1:2]
	s_mov_b64 s[18:19], 0
	s_cbranch_vccnz .LBB0_6
; %bb.5:
	v_cvt_f32_u32_e32 v1, s26
	s_waitcnt lgkmcnt(0)
	s_sub_i32 s1, 0, s26
	v_rcp_iflag_f32_e32 v1, v1
	v_mul_f32_e32 v1, 0x4f7ffffe, v1
	v_cvt_u32_f32_e32 v1, v1
	v_readfirstlane_b32 s7, v1
	s_mul_i32 s1, s1, s7
	s_mul_hi_u32 s1, s7, s1
	s_add_i32 s7, s7, s1
	s_mul_hi_u32 s1, s6, s7
	s_mul_i32 s13, s1, s26
	s_sub_i32 s13, s6, s13
	s_add_i32 s7, s1, 1
	s_sub_i32 s15, s13, s26
	s_cmp_ge_u32 s13, s26
	s_cselect_b32 s1, s7, s1
	s_cselect_b32 s13, s15, s13
	s_add_i32 s7, s1, 1
	s_cmp_ge_u32 s13, s26
	s_cselect_b32 s18, s7, s1
.LBB0_6:
	s_waitcnt lgkmcnt(0)
	s_mul_i32 s1, s24, s11
	s_mul_hi_u32 s7, s24, s10
	s_load_dword s2, s[2:3], 0x18
	s_add_i32 s7, s7, s1
	s_mul_i32 s1, s24, s10
	s_sub_u32 s1, s6, s1
	v_mul_u32_u24_e32 v1, 0x2aab, v0
	s_subb_u32 s6, 0, s7
	s_mul_i32 s19, s1, 6
	v_lshrrev_b32_e32 v85, 16, v1
	s_mul_i32 s6, s6, 6
	s_mul_hi_u32 s7, s1, 6
	s_mul_i32 s1, s14, s19
	s_mul_i32 s0, s0, s20
	v_mul_lo_u16_e32 v1, 6, v85
	s_add_i32 s6, s7, s6
	s_add_i32 s0, s0, s1
	s_waitcnt lgkmcnt(0)
	s_mul_i32 s1, s2, s18
	v_sub_u16_e32 v82, v0, v1
	s_add_i32 s2, s1, s0
	v_mov_b32_e32 v1, s6
	v_add_co_u32_e32 v57, vcc, s19, v82
	v_addc_co_u32_e32 v58, vcc, 0, v1, vcc
	s_add_u32 s0, s19, 6
	v_mov_b32_e32 v1, s22
	s_addc_u32 s1, s6, 0
	v_mov_b32_e32 v2, s23
	v_add_u32_e32 v6, 0x90, v85
	v_cmp_le_u64_e32 vcc, s[0:1], v[1:2]
	v_add_u32_e32 v2, 0x60, v85
	v_mul_lo_u32 v9, s12, v6
	v_or_b32_e32 v6, 0xc0, v85
	v_mul_lo_u32 v45, s14, v82
	v_mul_lo_u32 v5, s12, v2
	;; [unrolled: 1-line block ×3, first 2 shown]
	v_add_u32_e32 v6, 0xf0, v85
	v_add_u32_e32 v1, 48, v85
	v_mul_lo_u32 v6, s12, v6
	v_add_u32_e32 v7, 0x120, v85
	v_mul_lo_u32 v1, s12, v1
	v_cmp_gt_u64_e64 s[0:1], s[22:23], v[57:58]
	v_mul_lo_u32 v7, s12, v7
	v_cndmask_b32_e64 v83, 0, 1, s[0:1]
	s_or_b64 s[0:1], vcc, s[0:1]
	v_add_lshl_u32 v5, v45, v5, 4
	v_cndmask_b32_e64 v11, -1, v5, s[0:1]
	v_add_lshl_u32 v5, v45, v6, 4
	v_add_lshl_u32 v1, v45, v1, 4
	v_cndmask_b32_e64 v12, -1, v5, s[0:1]
	v_add_lshl_u32 v5, v45, v7, 4
	s_lshl_b32 s13, s2, 4
	s_mov_b32 s11, 0x20000
	s_mov_b32 s10, -2
	v_cndmask_b32_e64 v1, -1, v1, s[0:1]
	v_cndmask_b32_e64 v5, -1, v5, s[0:1]
	buffer_load_dwordx4 v[1:4], v1, s[8:11], s13 offen
	v_add_lshl_u32 v9, v45, v9, 4
	buffer_load_dwordx4 v[5:8], v5, s[8:11], s13 offen
	v_add_lshl_u32 v10, v45, v10, 4
	v_cndmask_b32_e64 v9, -1, v9, s[0:1]
	v_cndmask_b32_e64 v10, -1, v10, s[0:1]
	buffer_load_dwordx4 v[17:20], v11, s[8:11], s13 offen
	buffer_load_dwordx4 v[13:16], v9, s[8:11], s13 offen
	;; [unrolled: 1-line block ×4, first 2 shown]
	v_mul_lo_u32 v29, s12, v85
	v_add_u32_e32 v10, 0x5a, v85
	v_cmp_lt_u32_e64 s[6:7], 35, v0
	v_cmp_gt_u32_e64 s[2:3], 36, v0
	v_add_lshl_u32 v9, v45, v29, 4
	v_add_u32_e32 v11, 0x8a, v85
	v_add_u32_e32 v12, 0xba, v85
	;; [unrolled: 1-line block ×4, first 2 shown]
	v_mul_lo_u32 v10, s12, v10
	v_cndmask_b32_e64 v46, -1, v9, s[0:1]
	v_cndmask_b32_e64 v9, 0, 1, s[2:3]
	v_mul_lo_u32 v11, s12, v11
	v_mul_lo_u32 v47, s12, v12
	;; [unrolled: 1-line block ×3, first 2 shown]
	s_or_b64 s[6:7], s[6:7], vcc
	v_mul_lo_u32 v29, s12, v30
	v_cndmask_b32_e64 v9, v83, v9, s[6:7]
	v_and_b32_e32 v9, 1, v9
	v_add_lshl_u32 v10, v45, v10, 4
	v_cmp_eq_u32_e64 s[6:7], 1, v9
	v_add_lshl_u32 v11, v45, v11, 4
	v_add_u32_e32 v30, 0xea, v85
	v_add_lshl_u32 v12, v45, v12, 4
	v_add_lshl_u32 v29, v45, v29, 4
	v_cndmask_b32_e64 v49, -1, v10, s[6:7]
	v_mul_lo_u32 v48, s12, v30
	v_cndmask_b32_e64 v50, -1, v11, s[6:7]
	v_cndmask_b32_e64 v51, -1, v12, s[6:7]
	;; [unrolled: 1-line block ×3, first 2 shown]
	buffer_load_dwordx4 v[33:36], v49, s[8:11], s13 offen
	buffer_load_dwordx4 v[29:32], v50, s[8:11], s13 offen
	;; [unrolled: 1-line block ×5, first 2 shown]
	v_add_lshl_u32 v46, v45, v47, 4
	v_add_lshl_u32 v47, v45, v48, 4
	v_cndmask_b32_e64 v46, -1, v46, s[6:7]
	v_cndmask_b32_e64 v47, -1, v47, s[6:7]
	buffer_load_dwordx4 v[49:52], v46, s[8:11], s13 offen
	buffer_load_dwordx4 v[53:56], v47, s[8:11], s13 offen
	v_add_u32_e32 v84, 42, v85
	v_mul_lo_u32 v46, s12, v84
	s_mov_b32 s30, 0x37e14327
	s_mov_b32 s22, 0xe976ee23
	;; [unrolled: 1-line block ×3, first 2 shown]
	v_add_lshl_u32 v45, v45, v46, 4
	v_cndmask_b32_e64 v45, -1, v45, s[6:7]
	buffer_load_dwordx4 v[45:48], v45, s[8:11], s13 offen
	s_mov_b32 s36, 0x429ad128
	s_mov_b32 s31, 0x3fe948f6
	;; [unrolled: 1-line block ×17, first 2 shown]
	s_movk_i32 s6, 0x150
	s_waitcnt vmcnt(12)
	v_add_f64 v[62:63], v[1:2], v[5:6]
	v_add_f64 v[70:71], v[3:4], -v[7:8]
	s_waitcnt vmcnt(9)
	v_add_f64 v[64:65], v[17:18], v[25:26]
	v_add_f64 v[58:59], v[19:20], -v[27:28]
	s_waitcnt vmcnt(8)
	v_add_f64 v[60:61], v[23:24], -v[15:16]
	v_add_f64 v[66:67], v[13:14], v[21:22]
	v_add_f64 v[68:69], v[64:65], v[62:63]
	v_add_f64 v[78:79], v[58:59], -v[70:71]
	v_add_f64 v[72:73], v[60:61], -v[58:59]
	v_add_f64 v[76:77], v[60:61], v[58:59]
	v_add_f64 v[80:81], v[70:71], -v[60:61]
	v_add_f64 v[74:75], v[62:63], -v[66:67]
	;; [unrolled: 1-line block ×3, first 2 shown]
	v_add_f64 v[68:69], v[66:67], v[68:69]
	v_add_f64 v[66:67], v[66:67], -v[64:65]
	v_mul_f64 v[72:73], v[72:73], s[22:23]
	v_add_f64 v[70:71], v[76:77], v[70:71]
	v_mul_f64 v[74:75], v[74:75], s[30:31]
	v_mul_f64 v[94:95], v[66:67], s[24:25]
	v_fma_f64 v[96:97], v[80:81], s[34:35], v[72:73]
	v_fma_f64 v[102:103], v[78:79], s[36:37], -v[72:73]
	v_fma_f64 v[66:67], v[66:67], s[24:25], v[74:75]
	s_waitcnt vmcnt(5)
	v_add_f64 v[58:59], v[33:34], v[41:42]
	s_waitcnt vmcnt(4)
	v_add_f64 v[60:61], v[29:30], v[37:38]
	;; [unrolled: 2-line block ×3, first 2 shown]
	v_add_f64 v[62:63], v[35:36], -v[43:44]
	v_mul_f64 v[9:10], v[78:79], s[36:37]
	v_add_f64 v[64:65], v[31:32], -v[39:40]
	s_waitcnt vmcnt(1)
	v_add_f64 v[76:77], v[49:50], v[53:54]
	v_add_f64 v[92:93], v[55:56], -v[51:52]
	v_add_f64 v[90:91], v[60:61], v[58:59]
	v_fma_f64 v[98:99], v[68:69], s[28:29], v[88:89]
	v_fma_f64 v[104:105], v[80:81], s[38:39], -v[9:10]
	v_add_f64 v[68:69], v[58:59], -v[76:77]
	v_add_f64 v[100:101], v[62:63], -v[92:93]
	v_add_f64 v[90:91], v[76:77], v[90:91]
	v_add_f64 v[76:77], v[76:77], -v[60:61]
	v_add_f64 v[80:81], v[92:93], v[64:65]
	v_add_f64 v[78:79], v[92:93], -v[64:65]
	v_fma_f64 v[92:93], v[70:71], s[26:27], v[96:97]
	v_fma_f64 v[96:97], v[70:71], s[26:27], v[102:103]
	v_mul_f64 v[72:73], v[68:69], s[30:31]
	v_mul_f64 v[68:69], v[100:101], s[34:35]
	s_waitcnt vmcnt(0)
	v_add_f64 v[9:10], v[45:46], v[90:91]
	v_fma_f64 v[45:46], v[86:87], s[40:41], -v[74:75]
	v_fma_f64 v[74:75], v[86:87], s[42:43], -v[94:95]
	v_add_f64 v[94:95], v[66:67], v[98:99]
	v_add_f64 v[80:81], v[80:81], v[62:63]
	v_fma_f64 v[100:101], v[70:71], s[26:27], v[104:105]
	v_fma_f64 v[86:87], v[76:77], s[24:25], v[72:73]
	;; [unrolled: 1-line block ×4, first 2 shown]
	v_add_f64 v[45:46], v[45:46], v[98:99]
	v_add_f64 v[98:99], v[74:75], v[98:99]
	;; [unrolled: 1-line block ×3, first 2 shown]
	v_fma_f64 v[74:75], v[80:81], s[26:27], v[90:91]
	v_add_f64 v[90:91], v[92:93], v[94:95]
	v_add_f64 v[102:103], v[100:101], v[45:46]
	v_add_f64 v[104:105], v[98:99], -v[96:97]
	v_add_f64 v[96:97], v[96:97], v[98:99]
	v_add_f64 v[98:99], v[45:46], -v[100:101]
	v_mad_u32_u24 v87, v85, s6, 0
	v_add_f64 v[92:93], v[94:95], -v[92:93]
	v_add_f64 v[45:46], v[74:75], v[70:71]
	s_load_dwordx2 s[6:7], s[4:5], 0x0
	s_load_dwordx8 s[8:15], s[16:17], 0x0
	v_lshl_add_u32 v86, v82, 3, v87
	ds_write2_b64 v86, v[88:89], v[90:91] offset1:6
	ds_write2_b64 v86, v[102:103], v[104:105] offset0:12 offset1:18
	ds_write2_b64 v86, v[96:97], v[98:99] offset0:24 offset1:30
	ds_write_b64 v86, v[92:93] offset:288
	s_and_saveexec_b64 s[16:17], s[2:3]
	s_cbranch_execz .LBB0_8
; %bb.7:
	v_add_f64 v[58:59], v[60:61], -v[58:59]
	v_add_f64 v[60:61], v[64:65], -v[62:63]
	v_mul_f64 v[62:63], v[76:77], s[24:25]
	v_mul_f64 v[64:65], v[78:79], s[22:23]
	s_mov_b32 s45, 0xbfebfeb5
	s_mov_b32 s44, s36
	v_mul_f64 v[76:77], v[80:81], s[26:27]
	v_fma_f64 v[72:73], v[58:59], s[40:41], -v[72:73]
	v_fma_f64 v[68:69], v[60:61], s[44:45], -v[68:69]
	;; [unrolled: 1-line block ×4, first 2 shown]
	v_add_f64 v[62:63], v[72:73], v[66:67]
	v_add_f64 v[64:65], v[76:77], v[68:69]
	;; [unrolled: 1-line block ×4, first 2 shown]
	v_add_f64 v[66:67], v[62:63], -v[64:65]
	v_add_f64 v[62:63], v[64:65], v[62:63]
	v_add_f64 v[68:69], v[58:59], -v[60:61]
	v_add_f64 v[58:59], v[60:61], v[58:59]
	v_add_f64 v[60:61], v[70:71], -v[74:75]
	v_add_u32_e32 v64, 0x3000, v86
	v_add_u32_e32 v65, 0x3400, v86
	ds_write2_b64 v64, v[9:10], v[45:46] offset0:228 offset1:234
	ds_write2_b64 v64, v[62:63], v[68:69] offset0:240 offset1:246
	;; [unrolled: 1-line block ×3, first 2 shown]
	ds_write_b64 v86, v[60:61] offset:14400
.LBB0_8:
	s_or_b64 exec, exec, s[16:17]
	v_add_f64 v[3:4], v[3:4], v[7:8]
	v_add_f64 v[7:8], v[19:20], v[27:28]
	v_add_f64 v[9:10], v[15:16], v[23:24]
	v_add_f64 v[19:20], v[35:36], v[43:44]
	v_add_f64 v[23:24], v[31:32], v[39:40]
	v_add_f64 v[1:2], v[1:2], -v[5:6]
	v_add_f64 v[5:6], v[17:18], -v[25:26]
	;; [unrolled: 1-line block ×4, first 2 shown]
	v_add_f64 v[15:16], v[7:8], v[3:4]
	v_add_f64 v[21:22], v[29:30], -v[37:38]
	v_add_f64 v[25:26], v[51:52], v[55:56]
	v_add_f64 v[27:28], v[53:54], -v[49:50]
	v_add_f64 v[29:30], v[7:8], -v[3:4]
	;; [unrolled: 1-line block ×4, first 2 shown]
	v_add_f64 v[33:34], v[23:24], v[19:20]
	v_add_f64 v[9:10], v[9:10], v[15:16]
	;; [unrolled: 1-line block ×3, first 2 shown]
	v_add_f64 v[31:32], v[13:14], -v[5:6]
	v_add_f64 v[5:6], v[5:6], -v[1:2]
	;; [unrolled: 1-line block ×3, first 2 shown]
	v_mul_f64 v[3:4], v[3:4], s[30:31]
	v_mul_f64 v[35:36], v[7:8], s[24:25]
	v_add_f64 v[33:34], v[25:26], v[33:34]
	v_add_f64 v[52:53], v[11:12], v[9:10]
	v_add_f64 v[11:12], v[19:20], -v[25:26]
	v_add_f64 v[13:14], v[1:2], -v[13:14]
	v_add_f64 v[1:2], v[15:16], v[1:2]
	v_mul_f64 v[15:16], v[31:32], s[22:23]
	v_mul_f64 v[31:32], v[5:6], s[36:37]
	v_fma_f64 v[7:8], v[7:8], s[24:25], v[3:4]
	v_fma_f64 v[41:42], v[29:30], s[42:43], -v[35:36]
	v_fma_f64 v[3:4], v[29:30], s[40:41], -v[3:4]
	v_add_f64 v[39:40], v[25:26], -v[23:24]
	v_add_f64 v[29:30], v[27:28], v[21:22]
	v_add_f64 v[37:38], v[27:28], -v[21:22]
	v_add_f64 v[25:26], v[47:48], v[33:34]
	v_mul_f64 v[35:36], v[11:12], s[30:31]
	v_mul_f64 v[27:28], v[43:44], s[34:35]
	v_fma_f64 v[9:10], v[9:10], s[28:29], v[52:53]
	v_fma_f64 v[49:50], v[13:14], s[34:35], v[15:16]
	v_fma_f64 v[5:6], v[5:6], s[36:37], -v[15:16]
	v_fma_f64 v[11:12], v[13:14], s[38:39], -v[31:32]
	v_add_f64 v[43:44], v[29:30], v[17:18]
	v_fma_f64 v[29:30], v[33:34], s[28:29], v[25:26]
	v_fma_f64 v[15:16], v[39:40], s[24:25], v[35:36]
	;; [unrolled: 1-line block ×3, first 2 shown]
	v_add_f64 v[7:8], v[7:8], v[9:10]
	v_add_f64 v[13:14], v[41:42], v[9:10]
	;; [unrolled: 1-line block ×3, first 2 shown]
	v_fma_f64 v[9:10], v[1:2], s[26:27], v[49:50]
	v_fma_f64 v[11:12], v[1:2], s[26:27], v[11:12]
	;; [unrolled: 1-line block ×3, first 2 shown]
	v_add_f64 v[31:32], v[15:16], v[29:30]
	v_fma_f64 v[33:34], v[43:44], s[26:27], v[33:34]
	s_waitcnt lgkmcnt(0)
	s_movk_i32 s9, 0xfee0
	v_lshlrev_b32_e32 v48, 3, v82
	v_add_f64 v[54:55], v[7:8], -v[9:10]
	v_add_f64 v[58:59], v[3:4], -v[11:12]
	v_add_f64 v[60:61], v[1:2], v[13:14]
	v_add_f64 v[66:67], v[13:14], -v[1:2]
	v_add_f64 v[41:42], v[31:32], -v[33:34]
	v_mad_i32_i24 v1, v85, s9, v87
	v_add_u32_e32 v63, v1, v48
	v_add_u32_e32 v51, 0x7e0, v1
	v_add_f64 v[68:69], v[11:12], v[3:4]
	v_add_u32_e32 v65, v51, v48
	v_add_u32_e32 v49, 0x1f80, v63
	;; [unrolled: 1-line block ×3, first 2 shown]
	v_add_f64 v[70:71], v[9:10], v[7:8]
	s_barrier
	ds_read2_b64 v[9:12], v65 offset1:252
	ds_read_b64 v[13:14], v63
	ds_read_b64 v[15:16], v65 offset:4032
	ds_read2_b64 v[1:4], v49 offset1:252
	ds_read2_b64 v[5:8], v50 offset1:252
	v_add_u32_e32 v64, 0x7e0, v65
	v_add_u32_e32 v47, 0xfc0, v65
	s_waitcnt lgkmcnt(0)
	s_barrier
	ds_write2_b64 v86, v[52:53], v[54:55] offset1:6
	ds_write2_b64 v86, v[58:59], v[60:61] offset0:12 offset1:18
	ds_write2_b64 v86, v[66:67], v[68:69] offset0:24 offset1:30
	ds_write_b64 v86, v[70:71] offset:288
	s_and_saveexec_b64 s[16:17], s[2:3]
	s_cbranch_execz .LBB0_10
; %bb.9:
	v_mul_f64 v[39:40], v[39:40], s[24:25]
	v_add_f64 v[19:20], v[23:24], -v[19:20]
	v_mul_f64 v[37:38], v[37:38], s[22:23]
	v_add_f64 v[17:18], v[21:22], -v[17:18]
	s_mov_b32 s3, 0x3fe77f67
	s_mov_b32 s2, 0x5476071b
	v_mul_f64 v[23:24], v[43:44], s[26:27]
	v_fma_f64 v[21:22], v[19:20], s[2:3], -v[39:40]
	s_mov_b32 s3, 0xbfe77f67
	v_fma_f64 v[19:20], v[19:20], s[2:3], -v[35:36]
	s_mov_b32 s3, 0x3febfeb5
	s_mov_b32 s2, 0x429ad128
	v_fma_f64 v[35:36], v[17:18], s[2:3], -v[37:38]
	s_mov_b32 s3, 0xbfebfeb5
	v_fma_f64 v[17:18], v[17:18], s[2:3], -v[27:28]
	v_add_f64 v[21:22], v[21:22], v[29:30]
	v_add_f64 v[19:20], v[19:20], v[29:30]
	v_mul_u32_u24_e32 v29, 0x120, v84
	v_add3_u32 v29, v51, v29, v48
	v_add_f64 v[27:28], v[23:24], v[35:36]
	v_add_f64 v[17:18], v[23:24], v[17:18]
	;; [unrolled: 1-line block ×3, first 2 shown]
	v_add_f64 v[21:22], v[21:22], -v[27:28]
	v_add_f64 v[27:28], v[19:20], -v[17:18]
	v_add_f64 v[17:18], v[17:18], v[19:20]
	v_add_f64 v[19:20], v[33:34], v[31:32]
	ds_write2_b64 v29, v[25:26], v[41:42] offset1:6
	ds_write2_b64 v29, v[27:28], v[23:24] offset0:12 offset1:18
	ds_write2_b64 v29, v[21:22], v[17:18] offset0:24 offset1:30
	ds_write_b64 v29, v[19:20] offset:288
.LBB0_10:
	s_or_b64 exec, exec, s[16:17]
	v_mul_lo_u16_e32 v74, 37, v85
	v_mov_b32_e32 v17, 7
	v_mul_lo_u16_sdwa v18, v74, v17 dst_sel:DWORD dst_unused:UNUSED_PAD src0_sel:BYTE_1 src1_sel:DWORD
	v_sub_u16_e32 v75, v85, v18
	v_mul_u32_u24_sdwa v17, v75, v17 dst_sel:DWORD dst_unused:UNUSED_PAD src0_sel:BYTE_0 src1_sel:DWORD
	v_lshlrev_b32_e32 v43, 4, v17
	s_waitcnt lgkmcnt(0)
	s_barrier
	global_load_dwordx4 v[17:20], v43, s[6:7]
	global_load_dwordx4 v[21:24], v43, s[6:7] offset:16
	global_load_dwordx4 v[25:28], v43, s[6:7] offset:32
	;; [unrolled: 1-line block ×6, first 2 shown]
	ds_read_b64 v[43:44], v63
	ds_read_b64 v[55:56], v65
	;; [unrolled: 1-line block ×4, first 2 shown]
	ds_read2_b64 v[58:61], v49 offset1:252
	ds_read2_b64 v[66:69], v50 offset1:252
	v_mov_b32_e32 v76, 56
	v_mul_lo_u16_e32 v77, 0x93, v84
	v_mul_u32_u24_sdwa v76, v74, v76 dst_sel:DWORD dst_unused:UNUSED_PAD src0_sel:BYTE_1 src1_sel:DWORD
	v_lshrrev_b16_e32 v93, 11, v74
	v_lshrrev_b16_e32 v94, 13, v77
	v_mul_lo_u16_e32 v74, 56, v93
	v_mul_lo_u16_e32 v77, 56, v94
	v_or_b32_sdwa v75, v76, v75 dst_sel:DWORD dst_unused:UNUSED_PAD src0_sel:DWORD src1_sel:BYTE_0
	v_sub_u16_e32 v74, v85, v74
	v_sub_u16_e32 v76, v84, v77
	v_mul_u32_u24_e32 v75, 48, v75
	v_and_b32_e32 v95, 0xff, v74
	v_and_b32_e32 v96, 0xff, v76
	v_add3_u32 v97, 0, v75, v48
	s_mov_b32 s2, 0x667f3bcd
	s_mov_b32 s3, 0xbfe6a09e
	;; [unrolled: 1-line block ×4, first 2 shown]
	v_add_u32_e32 v99, 0x400, v97
	s_waitcnt vmcnt(0) lgkmcnt(0)
	s_barrier
	v_add_u32_e32 v62, 0x54, v85
	v_lshlrev_b32_e32 v98, 4, v95
	v_add_u32_e32 v92, 0x7e, v85
	v_mul_f64 v[74:75], v[55:56], v[19:20]
	v_mul_f64 v[19:20], v[9:10], v[19:20]
	;; [unrolled: 1-line block ×14, first 2 shown]
	v_fma_f64 v[9:10], v[9:10], v[17:18], -v[74:75]
	v_fma_f64 v[17:18], v[55:56], v[17:18], v[19:20]
	v_fma_f64 v[11:12], v[11:12], v[21:22], -v[76:77]
	v_fma_f64 v[19:20], v[70:71], v[21:22], v[23:24]
	;; [unrolled: 2-line block ×5, first 2 shown]
	v_fma_f64 v[27:28], v[60:61], v[33:34], v[35:36]
	v_fma_f64 v[7:8], v[7:8], v[51:52], -v[90:91]
	v_fma_f64 v[29:30], v[68:69], v[51:52], v[53:54]
	v_fma_f64 v[3:4], v[3:4], v[33:34], -v[86:87]
	v_add_f64 v[1:2], v[13:14], -v[1:2]
	v_add_f64 v[23:24], v[43:44], -v[23:24]
	;; [unrolled: 1-line block ×8, first 2 shown]
	v_fma_f64 v[13:14], v[13:14], 2.0, -v[1:2]
	v_fma_f64 v[31:32], v[43:44], 2.0, -v[23:24]
	;; [unrolled: 1-line block ×6, first 2 shown]
	v_add_f64 v[5:6], v[23:24], v[5:6]
	v_fma_f64 v[21:22], v[21:22], 2.0, -v[29:30]
	v_add_f64 v[7:8], v[27:28], v[7:8]
	v_fma_f64 v[9:10], v[9:10], 2.0, -v[3:4]
	v_add_f64 v[25:26], v[1:2], -v[25:26]
	v_add_f64 v[33:34], v[3:4], -v[29:30]
	;; [unrolled: 1-line block ×4, first 2 shown]
	v_fma_f64 v[23:24], v[23:24], 2.0, -v[5:6]
	v_add_f64 v[21:22], v[17:18], -v[21:22]
	v_fma_f64 v[27:28], v[27:28], 2.0, -v[7:8]
	v_add_f64 v[15:16], v[9:10], -v[15:16]
	v_fma_f64 v[1:2], v[1:2], 2.0, -v[25:26]
	v_fma_f64 v[3:4], v[3:4], 2.0, -v[33:34]
	v_fma_f64 v[29:30], v[33:34], s[16:17], v[25:26]
	v_fma_f64 v[31:32], v[31:32], 2.0, -v[19:20]
	v_fma_f64 v[37:38], v[7:8], s[16:17], v[5:6]
	;; [unrolled: 2-line block ×3, first 2 shown]
	v_fma_f64 v[13:14], v[13:14], 2.0, -v[11:12]
	v_fma_f64 v[9:10], v[9:10], 2.0, -v[15:16]
	v_fma_f64 v[35:36], v[3:4], s[2:3], v[1:2]
	v_add_f64 v[21:22], v[11:12], -v[21:22]
	v_fma_f64 v[7:8], v[7:8], s[2:3], v[29:30]
	v_add_f64 v[29:30], v[19:20], v[15:16]
	v_add_f64 v[17:18], v[31:32], -v[17:18]
	v_fma_f64 v[3:4], v[3:4], s[16:17], v[39:40]
	v_fma_f64 v[33:34], v[33:34], s[16:17], v[37:38]
	v_add_f64 v[9:10], v[13:14], -v[9:10]
	v_fma_f64 v[27:28], v[27:28], s[2:3], v[35:36]
	v_fma_f64 v[11:12], v[11:12], 2.0, -v[21:22]
	v_fma_f64 v[15:16], v[25:26], 2.0, -v[7:8]
	ds_write2_b64 v99, v[21:22], v[7:8] offset0:124 offset1:166
	v_fma_f64 v[7:8], v[31:32], 2.0, -v[17:18]
	v_fma_f64 v[21:22], v[23:24], 2.0, -v[3:4]
	;; [unrolled: 1-line block ×6, first 2 shown]
	ds_write2_b64 v97, v[11:12], v[15:16] offset0:84 offset1:126
	ds_write2_b64 v97, v[9:10], v[27:28] offset0:168 offset1:210
	ds_write2_b64 v97, v[13:14], v[1:2] offset1:42
	s_waitcnt lgkmcnt(0)
	s_barrier
	ds_read2_b64 v[13:16], v49 offset1:252
	ds_read2_b64 v[9:12], v50 offset1:252
	ds_read_b64 v[1:2], v63
	ds_read_b64 v[43:44], v65
	;; [unrolled: 1-line block ×4, first 2 shown]
	s_waitcnt lgkmcnt(0)
	s_barrier
	ds_write2_b64 v97, v[7:8], v[21:22] offset1:42
	ds_write2_b64 v97, v[19:20], v[5:6] offset0:84 offset1:126
	ds_write2_b64 v97, v[17:18], v[3:4] offset0:168 offset1:210
	ds_write2_b64 v99, v[29:30], v[33:34] offset0:124 offset1:166
	v_lshlrev_b32_e32 v3, 4, v96
	s_waitcnt lgkmcnt(0)
	s_barrier
	global_load_dwordx4 v[17:20], v98, s[6:7] offset:784
	global_load_dwordx4 v[21:24], v3, s[6:7] offset:784
	v_lshrrev_b16_e32 v3, 3, v62
	v_mul_lo_u16_e32 v3, 37, v3
	v_lshrrev_b16_e32 v53, 8, v3
	v_mul_lo_u16_e32 v3, 56, v53
	v_mul_u32_u24_e32 v4, 0x493, v92
	v_sub_u16_e32 v3, v62, v3
	v_lshrrev_b32_e32 v4, 16, v4
	v_and_b32_e32 v54, 0xff, v3
	v_mul_lo_u16_e32 v5, 56, v4
	v_lshlrev_b32_e32 v3, 4, v54
	v_sub_u16_e32 v5, v92, v5
	v_lshlrev_b32_e32 v6, 4, v5
	global_load_dwordx4 v[25:28], v3, s[6:7] offset:784
	global_load_dwordx4 v[29:32], v6, s[6:7] offset:784
	ds_read2_b64 v[33:36], v49 offset1:252
	s_movk_i32 s2, 0x70
	ds_read2_b64 v[37:40], v50 offset1:252
	v_mad_u32_u24 v3, v93, s2, v95
	v_mad_u32_u24 v56, v4, s2, v5
	v_mul_u32_u24_e32 v58, 48, v3
	v_mad_u32_u24 v55, v94, s2, v96
	v_mad_u32_u24 v53, v53, s2, v54
	v_mul_u32_u24_e32 v55, 48, v55
	v_mul_u32_u24_e32 v56, 48, v56
	;; [unrolled: 1-line block ×3, first 2 shown]
	v_add3_u32 v69, 0, v58, v48
	v_add3_u32 v68, 0, v55, v48
	;; [unrolled: 1-line block ×4, first 2 shown]
	ds_read_b64 v[58:59], v63
	ds_read_b64 v[60:61], v65
	;; [unrolled: 1-line block ×4, first 2 shown]
	v_add_u32_e32 v66, 0x1500, v63
	v_add_u32_e32 v67, 0x2a00, v63
	s_waitcnt vmcnt(0) lgkmcnt(0)
	s_barrier
	s_load_dwordx2 s[16:17], s[4:5], 0x60
	s_movk_i32 s2, 0xa8
	v_cmp_gt_u32_e64 s[2:3], s2, v0
	v_mul_f64 v[3:4], v[33:34], v[19:20]
	v_mul_f64 v[5:6], v[35:36], v[23:24]
	v_fma_f64 v[3:4], v[13:14], v[17:18], -v[3:4]
	v_fma_f64 v[5:6], v[15:16], v[21:22], -v[5:6]
	v_mul_f64 v[7:8], v[37:38], v[27:28]
	v_mul_f64 v[49:50], v[39:40], v[31:32]
	v_add_f64 v[3:4], v[1:2], -v[3:4]
	v_add_f64 v[5:6], v[43:44], -v[5:6]
	v_fma_f64 v[7:8], v[9:10], v[25:26], -v[7:8]
	v_fma_f64 v[49:50], v[11:12], v[29:30], -v[49:50]
	v_fma_f64 v[1:2], v[1:2], 2.0, -v[3:4]
	v_fma_f64 v[47:48], v[43:44], 2.0, -v[5:6]
	v_add_f64 v[7:8], v[51:52], -v[7:8]
	v_add_f64 v[49:50], v[72:73], -v[49:50]
	v_fma_f64 v[51:52], v[51:52], 2.0, -v[7:8]
	v_fma_f64 v[43:44], v[72:73], 2.0, -v[49:50]
	ds_write_b64 v69, v[3:4] offset:2688
	ds_write_b64 v69, v[1:2]
	ds_write_b64 v68, v[47:48]
	ds_write_b64 v68, v[5:6] offset:2688
	ds_write_b64 v71, v[51:52]
	ds_write_b64 v71, v[7:8] offset:2688
	;; [unrolled: 2-line block ×3, first 2 shown]
	s_waitcnt lgkmcnt(0)
	s_barrier
	ds_read2_b64 v[5:8], v66 offset1:252
	ds_read2_b64 v[1:4], v67 offset1:252
	ds_read_b64 v[51:52], v63
	ds_read_b64 v[47:48], v65
	s_and_saveexec_b64 s[22:23], s[2:3]
	s_cbranch_execz .LBB0_12
; %bb.11:
	ds_read_b64 v[49:50], v63 offset:9408
	ds_read_b64 v[43:44], v64
	ds_read_b64 v[45:46], v63 offset:14784
.LBB0_12:
	s_or_b64 exec, exec, s[22:23]
	v_mul_f64 v[13:14], v[13:14], v[19:20]
	v_mul_f64 v[15:16], v[15:16], v[23:24]
	;; [unrolled: 1-line block ×4, first 2 shown]
	s_waitcnt lgkmcnt(0)
	s_barrier
	v_fma_f64 v[13:14], v[33:34], v[17:18], v[13:14]
	v_fma_f64 v[15:16], v[35:36], v[21:22], v[15:16]
	;; [unrolled: 1-line block ×4, first 2 shown]
	v_add_f64 v[13:14], v[58:59], -v[13:14]
	v_add_f64 v[15:16], v[60:61], -v[15:16]
	;; [unrolled: 1-line block ×4, first 2 shown]
	v_fma_f64 v[11:12], v[58:59], 2.0, -v[13:14]
	v_fma_f64 v[19:20], v[60:61], 2.0, -v[15:16]
	v_fma_f64 v[23:24], v[55:56], 2.0, -v[9:10]
	v_fma_f64 v[17:18], v[53:54], 2.0, -v[21:22]
	ds_write_b64 v69, v[13:14] offset:2688
	ds_write_b64 v69, v[11:12]
	ds_write_b64 v68, v[19:20]
	ds_write_b64 v68, v[15:16] offset:2688
	ds_write_b64 v71, v[23:24]
	ds_write_b64 v71, v[9:10] offset:2688
	;; [unrolled: 2-line block ×3, first 2 shown]
	s_waitcnt lgkmcnt(0)
	s_barrier
	ds_read2_b64 v[13:16], v66 offset1:252
	ds_read2_b64 v[9:12], v67 offset1:252
	ds_read_b64 v[23:24], v63
	ds_read_b64 v[19:20], v65
	s_and_saveexec_b64 s[22:23], s[2:3]
	s_cbranch_execz .LBB0_14
; %bb.13:
	ds_read_b64 v[21:22], v63 offset:9408
	ds_read_b64 v[17:18], v64
	ds_read_b64 v[41:42], v63 offset:14784
.LBB0_14:
	s_or_b64 exec, exec, s[22:23]
	s_movk_i32 s2, 0x2a0
	v_add_u32_e32 v25, 0xffffff90, v85
	v_cmp_gt_u32_e64 s[2:3], s2, v0
	v_cndmask_b32_e64 v26, v25, v85, s[2:3]
	v_lshlrev_b32_e32 v35, 1, v26
	v_mov_b32_e32 v36, 0
	v_lshlrev_b64 v[27:28], 4, v[35:36]
	v_mov_b32_e32 v25, s7
	v_add_co_u32_e64 v37, s[2:3], s6, v27
	v_addc_co_u32_e64 v38, s[2:3], v25, v28, s[2:3]
	global_load_dwordx4 v[27:30], v[37:38], off offset:1696
	global_load_dwordx4 v[31:34], v[37:38], off offset:1680
	s_movk_i32 s2, 0x1a4
	v_add_u32_e32 v35, 0xffffffba, v85
	v_cmp_gt_u32_e64 s[2:3], s2, v0
	v_cndmask_b32_e64 v67, v35, v84, s[2:3]
	v_lshlrev_b32_e32 v35, 1, v67
	v_lshlrev_b64 v[35:36], 4, v[35:36]
	v_add_u32_e32 v68, 0xe0, v26
	v_add_co_u32_e64 v39, s[2:3], s6, v35
	v_addc_co_u32_e64 v40, s[2:3], v25, v36, s[2:3]
	global_load_dwordx4 v[35:38], v[39:40], off offset:1696
	global_load_dwordx4 v[53:56], v[39:40], off offset:1680
	v_lshrrev_b16_e32 v25, 4, v62
	v_mul_lo_u16_e32 v25, 37, v25
	v_lshrrev_b16_e32 v25, 8, v25
	v_mul_lo_u16_e32 v39, 0x70, v25
	v_sub_u16_e32 v39, v62, v39
	v_and_b32_e32 v81, 0xff, v39
	v_lshlrev_b32_e32 v39, 5, v81
	global_load_dwordx4 v[58:61], v39, s[6:7] offset:1680
	global_load_dwordx4 v[63:66], v39, s[6:7] offset:1696
	s_load_dwordx2 s[6:7], s[4:5], 0x8
	v_mul_lo_u32 v39, v57, v26
	v_mul_lo_u32 v69, v57, v67
	v_add_u32_e32 v70, 0x70, v67
	v_add_u32_e32 v67, 0xe0, v67
	v_mul_lo_u32 v68, v57, v68
	v_mul_lo_u32 v70, v57, v70
	;; [unrolled: 1-line block ×3, first 2 shown]
	v_mov_b32_e32 v125, 4
	v_mov_b32_e32 v126, 0x1000
	v_lshlrev_b32_sdwa v75, v125, v39 dst_sel:DWORD dst_unused:UNUSED_PAD src0_sel:DWORD src1_sel:BYTE_0
	v_bfe_u32 v39, v39, 8, 8
	v_lshlrev_b32_sdwa v79, v125, v69 dst_sel:DWORD dst_unused:UNUSED_PAD src0_sel:DWORD src1_sel:BYTE_0
	v_bfe_u32 v69, v69, 8, 8
	v_lshl_or_b32 v39, v39, 4, v126
	v_lshlrev_b32_sdwa v105, v125, v68 dst_sel:DWORD dst_unused:UNUSED_PAD src0_sel:DWORD src1_sel:BYTE_0
	v_bfe_u32 v76, v68, 8, 8
	v_lshl_or_b32 v89, v69, 4, v126
	v_lshlrev_b32_sdwa v113, v125, v70 dst_sel:DWORD dst_unused:UNUSED_PAD src0_sel:DWORD src1_sel:BYTE_0
	v_bfe_u32 v90, v70, 8, 8
	v_lshlrev_b32_sdwa v119, v125, v67 dst_sel:DWORD dst_unused:UNUSED_PAD src0_sel:DWORD src1_sel:BYTE_0
	v_bfe_u32 v120, v67, 8, 8
	s_waitcnt lgkmcnt(0)
	global_load_dwordx4 v[67:70], v75, s[6:7]
	global_load_dwordx4 v[71:74], v39, s[6:7]
	v_add_u32_e32 v40, 0x70, v26
	v_mul_lo_u32 v40, v57, v40
	v_lshl_or_b32 v106, v76, 4, v126
	global_load_dwordx4 v[75:78], v79, s[6:7]
	global_load_dwordx4 v[85:88], v89, s[6:7]
	v_lshl_or_b32 v114, v90, 4, v126
	v_lshlrev_b32_sdwa v80, v125, v40 dst_sel:DWORD dst_unused:UNUSED_PAD src0_sel:DWORD src1_sel:BYTE_0
	v_bfe_u32 v40, v40, 8, 8
	v_lshl_or_b32 v39, v40, 4, v126
	global_load_dwordx4 v[89:92], v80, s[6:7]
	global_load_dwordx4 v[93:96], v39, s[6:7]
	;; [unrolled: 1-line block ×4, first 2 shown]
	s_nop 0
	global_load_dwordx4 v[105:108], v113, s[6:7]
	global_load_dwordx4 v[109:112], v114, s[6:7]
	s_mov_b32 s2, 0xe8584caa
	s_mov_b32 s3, 0x3febb67a
	;; [unrolled: 1-line block ×4, first 2 shown]
	s_mul_i32 s9, s12, s20
	s_mul_i32 s11, s10, s19
	s_add_i32 s9, s9, s11
	s_mov_b32 s19, 0x20000
	s_waitcnt vmcnt(15)
	v_mul_f64 v[79:80], v[9:10], v[29:30]
	s_waitcnt vmcnt(14)
	v_mul_f64 v[39:40], v[13:14], v[33:34]
	v_mul_f64 v[33:34], v[5:6], v[33:34]
	;; [unrolled: 1-line block ×3, first 2 shown]
	v_fma_f64 v[1:2], v[1:2], v[27:28], -v[79:80]
	v_fma_f64 v[5:6], v[5:6], v[31:32], -v[39:40]
	v_fma_f64 v[13:14], v[13:14], v[31:32], v[33:34]
	v_fma_f64 v[9:10], v[9:10], v[27:28], v[29:30]
	s_waitcnt vmcnt(13)
	v_mul_f64 v[33:34], v[11:12], v[37:38]
	s_waitcnt vmcnt(12)
	v_mul_f64 v[113:114], v[15:16], v[55:56]
	v_mul_f64 v[31:32], v[7:8], v[55:56]
	;; [unrolled: 1-line block ×3, first 2 shown]
	s_waitcnt vmcnt(11)
	v_mul_f64 v[29:30], v[21:22], v[60:61]
	v_fma_f64 v[39:40], v[7:8], v[53:54], -v[113:114]
	v_mul_f64 v[7:8], v[49:50], v[60:61]
	v_fma_f64 v[55:56], v[3:4], v[35:36], -v[33:34]
	v_add_f64 v[3:4], v[5:6], v[1:2]
	s_waitcnt vmcnt(10)
	v_mul_f64 v[37:38], v[41:42], v[65:66]
	v_fma_f64 v[53:54], v[15:16], v[53:54], v[31:32]
	v_mul_f64 v[15:16], v[45:46], v[65:66]
	v_fma_f64 v[60:61], v[11:12], v[35:36], v[27:28]
	v_add_f64 v[11:12], v[13:14], v[9:10]
	v_fma_f64 v[49:50], v[49:50], v[58:59], -v[29:30]
	v_fma_f64 v[58:59], v[21:22], v[58:59], v[7:8]
	v_add_f64 v[7:8], v[51:52], v[5:6]
	v_add_f64 v[21:22], v[13:14], -v[9:10]
	v_add_f64 v[13:14], v[23:24], v[13:14]
	v_fma_f64 v[3:4], v[3:4], -0.5, v[51:52]
	v_add_f64 v[51:52], v[5:6], -v[1:2]
	v_fma_f64 v[45:46], v[45:46], v[63:64], -v[37:38]
	v_fma_f64 v[41:42], v[41:42], v[63:64], v[15:16]
	v_add_f64 v[31:32], v[39:40], v[55:56]
	v_add_f64 v[63:64], v[7:8], v[1:2]
	v_fma_f64 v[65:66], v[11:12], -0.5, v[23:24]
	v_add_f64 v[79:80], v[13:14], v[9:10]
	v_fma_f64 v[113:114], v[21:22], s[2:3], v[3:4]
	v_fma_f64 v[115:116], v[21:22], s[4:5], v[3:4]
	v_lshl_or_b32 v10, v120, 4, v126
	global_load_dwordx4 v[1:4], v119, s[6:7]
	global_load_dwordx4 v[5:8], v10, s[6:7]
	v_mul_lo_u32 v9, v57, v81
	v_add_u32_e32 v10, 0x70, v81
	v_mul_lo_u32 v22, v57, v10
	v_add_f64 v[119:120], v[47:48], v[39:40]
	v_lshlrev_b32_sdwa v21, v125, v9 dst_sel:DWORD dst_unused:UNUSED_PAD src0_sel:DWORD src1_sel:BYTE_0
	v_bfe_u32 v9, v9, 8, 8
	v_lshl_or_b32 v23, v9, 4, v126
	global_load_dwordx4 v[9:12], v21, s[6:7]
	global_load_dwordx4 v[13:16], v23, s[6:7]
	v_lshlrev_b32_sdwa v33, v125, v22 dst_sel:DWORD dst_unused:UNUSED_PAD src0_sel:DWORD src1_sel:BYTE_0
	v_bfe_u32 v21, v22, 8, 8
	v_lshl_or_b32 v34, v21, 4, v126
	global_load_dwordx4 v[21:24], v33, s[6:7]
	global_load_dwordx4 v[27:30], v34, s[6:7]
	v_add_u32_e32 v33, 0xe0, v81
	v_mul_lo_u32 v33, v57, v33
	v_fma_f64 v[47:48], v[31:32], -0.5, v[47:48]
	v_add_f64 v[123:124], v[53:54], v[60:61]
	v_add_f64 v[121:122], v[53:54], -v[60:61]
	v_lshlrev_b32_sdwa v57, v125, v33 dst_sel:DWORD dst_unused:UNUSED_PAD src0_sel:DWORD src1_sel:BYTE_0
	v_bfe_u32 v31, v33, 8, 8
	v_lshl_or_b32 v81, v31, 4, v126
	global_load_dwordx4 v[31:34], v57, s[6:7]
	global_load_dwordx4 v[35:38], v81, s[6:7]
	v_add_f64 v[53:54], v[19:20], v[53:54]
	v_add_f64 v[39:40], v[39:40], -v[55:56]
	v_fma_f64 v[19:20], v[123:124], -0.5, v[19:20]
	v_fma_f64 v[117:118], v[51:52], s[4:5], v[65:66]
	v_fma_f64 v[51:52], v[51:52], s[2:3], v[65:66]
	v_add_f64 v[55:56], v[119:120], v[55:56]
	v_add_f64 v[65:66], v[43:44], v[49:50]
	;; [unrolled: 1-line block ×3, first 2 shown]
	v_fma_f64 v[123:124], v[121:122], s[2:3], v[47:48]
	v_fma_f64 v[121:122], v[121:122], s[4:5], v[47:48]
	v_add_f64 v[47:48], v[58:59], v[41:42]
	v_add_f64 v[53:54], v[53:54], v[60:61]
	v_fma_f64 v[60:61], v[39:40], s[4:5], v[19:20]
	v_fma_f64 v[125:126], v[39:40], s[2:3], v[19:20]
	s_waitcnt vmcnt(16)
	v_mul_f64 v[39:40], v[67:68], v[73:74]
	v_add_f64 v[65:66], v[65:66], v[45:46]
	v_fma_f64 v[19:20], v[119:120], -0.5, v[43:44]
	v_add_f64 v[43:44], v[17:18], v[58:59]
	v_fma_f64 v[17:18], v[47:48], -0.5, v[17:18]
	v_mul_f64 v[47:48], v[69:70], v[73:74]
	v_add_f64 v[57:58], v[58:59], -v[41:42]
	v_add_f64 v[45:46], v[49:50], -v[45:46]
	s_waitcnt vmcnt(12)
	v_mul_f64 v[49:50], v[89:90], v[95:96]
	v_fma_f64 v[39:40], v[69:70], v[71:72], v[39:40]
	v_mul_f64 v[69:70], v[91:92], v[95:96]
	s_mul_i32 s6, s14, s18
	s_add_i32 s6, s6, s9
	v_fma_f64 v[47:48], v[67:68], v[71:72], -v[47:48]
	v_fma_f64 v[67:68], v[57:58], s[2:3], v[19:20]
	v_fma_f64 v[57:58], v[57:58], s[4:5], v[19:20]
	;; [unrolled: 1-line block ×3, first 2 shown]
	v_mul_f64 v[19:20], v[79:80], v[39:40]
	v_add_f64 v[71:72], v[43:44], v[41:42]
	s_waitcnt vmcnt(10)
	v_mul_f64 v[41:42], v[97:98], v[103:104]
	v_fma_f64 v[73:74], v[45:46], s[4:5], v[17:18]
	v_mul_f64 v[39:40], v[63:64], v[39:40]
	v_fma_f64 v[43:44], v[89:90], v[93:94], -v[69:70]
	v_fma_f64 v[89:90], v[45:46], s[2:3], v[17:18]
	v_mul_f64 v[69:70], v[117:118], v[49:50]
	v_fma_f64 v[17:18], v[63:64], v[47:48], -v[19:20]
	v_mul_f64 v[45:46], v[75:76], v[87:88]
	v_mul_f64 v[63:64], v[99:100], v[103:104]
	v_fma_f64 v[91:92], v[99:100], v[101:102], v[41:42]
	v_mul_f64 v[41:42], v[113:114], v[49:50]
	v_fma_f64 v[19:20], v[79:80], v[47:48], v[39:40]
	s_waitcnt vmcnt(8)
	v_mul_f64 v[47:48], v[105:106], v[111:112]
	v_fma_f64 v[39:40], v[113:114], v[43:44], -v[69:70]
	v_mul_f64 v[49:50], v[77:78], v[87:88]
	v_fma_f64 v[45:46], v[77:78], v[85:86], v[45:46]
	v_fma_f64 v[63:64], v[97:98], v[101:102], -v[63:64]
	v_mul_f64 v[69:70], v[51:52], v[91:92]
	v_mul_f64 v[77:78], v[107:108], v[111:112]
	;; [unrolled: 1-line block ×3, first 2 shown]
	v_fma_f64 v[41:42], v[117:118], v[43:44], v[41:42]
	v_fma_f64 v[87:88], v[107:108], v[109:110], v[47:48]
	v_fma_f64 v[49:50], v[75:76], v[85:86], -v[49:50]
	v_mul_f64 v[47:48], v[53:54], v[45:46]
	s_movk_i32 s2, 0x29f
	v_fma_f64 v[43:44], v[115:116], v[63:64], -v[69:70]
	v_mul_f64 v[69:70], v[55:56], v[45:46]
	v_fma_f64 v[75:76], v[105:106], v[109:110], -v[77:78]
	s_waitcnt vmcnt(6)
	v_mul_f64 v[77:78], v[1:2], v[7:8]
	v_fma_f64 v[45:46], v[51:52], v[63:64], v[79:80]
	v_mul_f64 v[7:8], v[3:4], v[7:8]
	v_fma_f64 v[47:48], v[55:56], v[49:50], -v[47:48]
	v_cmp_lt_u32_e64 s[2:3], s2, v0
	s_waitcnt vmcnt(4)
	v_mul_f64 v[51:52], v[9:10], v[15:16]
	v_fma_f64 v[49:50], v[53:54], v[49:50], v[69:70]
	v_mul_f64 v[15:16], v[11:12], v[15:16]
	v_fma_f64 v[55:56], v[3:4], v[5:6], v[77:78]
	s_waitcnt vmcnt(2)
	v_mul_f64 v[53:54], v[21:22], v[29:30]
	v_fma_f64 v[1:2], v[1:2], v[5:6], -v[7:8]
	v_mul_f64 v[5:6], v[23:24], v[29:30]
	s_lshl_b32 s5, s6, 4
	v_fma_f64 v[11:12], v[11:12], v[13:14], v[51:52]
	s_mov_b32 s18, -2
	v_fma_f64 v[13:14], v[9:10], v[13:14], -v[15:16]
	v_mul_f64 v[7:8], v[125:126], v[55:56]
	v_fma_f64 v[23:24], v[23:24], v[27:28], v[53:54]
	s_waitcnt vmcnt(0)
	v_mul_f64 v[51:52], v[31:32], v[37:38]
	v_mul_f64 v[29:30], v[121:122], v[55:56]
	;; [unrolled: 1-line block ×4, first 2 shown]
	v_fma_f64 v[27:28], v[21:22], v[27:28], -v[5:6]
	v_mul_f64 v[53:54], v[65:66], v[11:12]
	v_fma_f64 v[7:8], v[121:122], v[1:2], -v[7:8]
	v_mul_f64 v[21:22], v[73:74], v[23:24]
	v_fma_f64 v[33:34], v[33:34], v[35:36], v[51:52]
	v_fma_f64 v[9:10], v[125:126], v[1:2], v[29:30]
	v_mul_f64 v[1:2], v[67:68], v[23:24]
	v_mov_b32_e32 v23, 0x150
	v_cndmask_b32_e64 v23, 0, v23, s[2:3]
	v_fma_f64 v[11:12], v[65:66], v[13:14], -v[15:16]
	v_fma_f64 v[15:16], v[31:32], v[35:36], -v[37:38]
	s_movk_i32 s2, 0x1a3
	v_mul_f64 v[29:30], v[89:90], v[33:34]
	v_mul_f64 v[31:32], v[57:58], v[33:34]
	v_add_u32_e32 v34, v26, v23
	v_mul_lo_u32 v33, s10, v82
	v_mul_lo_u32 v35, s8, v34
	v_fma_f64 v[23:24], v[73:74], v[27:28], v[1:2]
	v_add_u32_e32 v2, 0x70, v34
	v_mul_lo_u32 v2, s8, v2
	v_add_lshl_u32 v1, v33, v35, 4
	v_cndmask_b32_e64 v1, -1, v1, s[0:1]
	buffer_store_dwordx4 v[17:20], v1, s[16:19], s5 offen
	v_add_lshl_u32 v1, v33, v2, 4
	v_cndmask_b32_e64 v1, -1, v1, s[0:1]
	v_mul_f64 v[85:86], v[60:61], v[87:88]
	v_mul_f64 v[63:64], v[123:124], v[87:88]
	buffer_store_dwordx4 v[39:42], v1, s[16:19], s5 offen
	v_add_u32_e32 v1, 0xe0, v34
	v_mov_b32_e32 v2, 0xe0
	v_cmp_lt_u32_e64 s[2:3], s2, v0
	v_mul_lo_u32 v1, s8, v1
	v_cndmask_b32_e64 v2, 0, v2, s[2:3]
	v_add_u32_e32 v2, v84, v2
	v_fma_f64 v[21:22], v[67:68], v[27:28], -v[21:22]
	v_fma_f64 v[26:27], v[57:58], v[15:16], -v[29:30]
	v_fma_f64 v[28:29], v[89:90], v[15:16], v[31:32]
	v_mul_lo_u32 v15, s8, v2
	v_add_lshl_u32 v1, v33, v1, 4
	v_cndmask_b32_e64 v1, -1, v1, s[0:1]
	buffer_store_dwordx4 v[43:46], v1, s[16:19], s5 offen
	v_add_lshl_u32 v1, v33, v15, 4
	v_fma_f64 v[3:4], v[123:124], v[75:76], -v[85:86]
	v_fma_f64 v[5:6], v[60:61], v[75:76], v[63:64]
	v_cndmask_b32_e64 v1, -1, v1, s[0:1]
	v_add_u32_e32 v15, 0x70, v2
	buffer_store_dwordx4 v[47:50], v1, s[16:19], s5 offen
	v_add_u32_e32 v1, 0xe0, v2
	v_mul_lo_u32 v15, s8, v15
	v_mul_lo_u32 v1, s8, v1
	s_movk_i32 s4, 0xe0
	v_fma_f64 v[13:14], v[71:72], v[13:14], v[53:54]
	v_add_lshl_u32 v2, v33, v15, 4
	v_add_lshl_u32 v1, v33, v1, 4
	v_cndmask_b32_e64 v2, -1, v2, s[0:1]
	v_cndmask_b32_e64 v1, -1, v1, s[0:1]
	buffer_store_dwordx4 v[3:6], v2, s[16:19], s5 offen
	buffer_store_dwordx4 v[7:10], v1, s[16:19], s5 offen
	v_mad_u32_u24 v1, v25, s4, v62
	s_movk_i32 s2, 0xa8
	s_movk_i32 s0, 0xa7
	v_mul_lo_u32 v2, s8, v1
	v_cmp_lt_u32_e64 s[0:1], s0, v0
	v_cmp_gt_u32_e64 s[2:3], s2, v0
	v_cndmask_b32_e64 v0, 0, 1, s[2:3]
	s_or_b64 vcc, s[0:1], vcc
	v_cndmask_b32_e32 v0, v83, v0, vcc
	v_and_b32_e32 v0, 1, v0
	v_add_lshl_u32 v2, v33, v2, 4
	v_cmp_eq_u32_e32 vcc, 1, v0
	v_cndmask_b32_e32 v0, -1, v2, vcc
	v_add_u32_e32 v2, 0x70, v1
	buffer_store_dwordx4 v[11:14], v0, s[16:19], s5 offen
	v_add_u32_e32 v0, 0xe0, v1
	v_mul_lo_u32 v2, s8, v2
	v_mul_lo_u32 v0, s8, v0
	v_add_lshl_u32 v1, v33, v2, 4
	v_add_lshl_u32 v0, v33, v0, 4
	v_cndmask_b32_e32 v1, -1, v1, vcc
	v_cndmask_b32_e32 v0, -1, v0, vcc
	buffer_store_dwordx4 v[21:24], v1, s[16:19], s5 offen
	buffer_store_dwordx4 v[26:29], v0, s[16:19], s5 offen
	s_endpgm
	.section	.rodata,"a",@progbits
	.p2align	6, 0x0
	.amdhsa_kernel fft_rtc_fwd_len336_factors_7_8_2_3_wgs_252_tpt_42_halfLds_dim3_dp_op_CI_CI_sbcc_twdbase8_2step_dirReg_intrinsicReadWrite
		.amdhsa_group_segment_fixed_size 0
		.amdhsa_private_segment_fixed_size 0
		.amdhsa_kernarg_size 104
		.amdhsa_user_sgpr_count 6
		.amdhsa_user_sgpr_private_segment_buffer 1
		.amdhsa_user_sgpr_dispatch_ptr 0
		.amdhsa_user_sgpr_queue_ptr 0
		.amdhsa_user_sgpr_kernarg_segment_ptr 1
		.amdhsa_user_sgpr_dispatch_id 0
		.amdhsa_user_sgpr_flat_scratch_init 0
		.amdhsa_user_sgpr_private_segment_size 0
		.amdhsa_uses_dynamic_stack 0
		.amdhsa_system_sgpr_private_segment_wavefront_offset 0
		.amdhsa_system_sgpr_workgroup_id_x 1
		.amdhsa_system_sgpr_workgroup_id_y 0
		.amdhsa_system_sgpr_workgroup_id_z 0
		.amdhsa_system_sgpr_workgroup_info 0
		.amdhsa_system_vgpr_workitem_id 0
		.amdhsa_next_free_vgpr 127
		.amdhsa_next_free_sgpr 46
		.amdhsa_reserve_vcc 1
		.amdhsa_reserve_flat_scratch 0
		.amdhsa_float_round_mode_32 0
		.amdhsa_float_round_mode_16_64 0
		.amdhsa_float_denorm_mode_32 3
		.amdhsa_float_denorm_mode_16_64 3
		.amdhsa_dx10_clamp 1
		.amdhsa_ieee_mode 1
		.amdhsa_fp16_overflow 0
		.amdhsa_exception_fp_ieee_invalid_op 0
		.amdhsa_exception_fp_denorm_src 0
		.amdhsa_exception_fp_ieee_div_zero 0
		.amdhsa_exception_fp_ieee_overflow 0
		.amdhsa_exception_fp_ieee_underflow 0
		.amdhsa_exception_fp_ieee_inexact 0
		.amdhsa_exception_int_div_zero 0
	.end_amdhsa_kernel
	.text
.Lfunc_end0:
	.size	fft_rtc_fwd_len336_factors_7_8_2_3_wgs_252_tpt_42_halfLds_dim3_dp_op_CI_CI_sbcc_twdbase8_2step_dirReg_intrinsicReadWrite, .Lfunc_end0-fft_rtc_fwd_len336_factors_7_8_2_3_wgs_252_tpt_42_halfLds_dim3_dp_op_CI_CI_sbcc_twdbase8_2step_dirReg_intrinsicReadWrite
                                        ; -- End function
	.section	.AMDGPU.csdata,"",@progbits
; Kernel info:
; codeLenInByte = 7640
; NumSgprs: 50
; NumVgprs: 127
; ScratchSize: 0
; MemoryBound: 0
; FloatMode: 240
; IeeeMode: 1
; LDSByteSize: 0 bytes/workgroup (compile time only)
; SGPRBlocks: 6
; VGPRBlocks: 31
; NumSGPRsForWavesPerEU: 50
; NumVGPRsForWavesPerEU: 127
; Occupancy: 2
; WaveLimiterHint : 0
; COMPUTE_PGM_RSRC2:SCRATCH_EN: 0
; COMPUTE_PGM_RSRC2:USER_SGPR: 6
; COMPUTE_PGM_RSRC2:TRAP_HANDLER: 0
; COMPUTE_PGM_RSRC2:TGID_X_EN: 1
; COMPUTE_PGM_RSRC2:TGID_Y_EN: 0
; COMPUTE_PGM_RSRC2:TGID_Z_EN: 0
; COMPUTE_PGM_RSRC2:TIDIG_COMP_CNT: 0
	.type	__hip_cuid_c8c8fb0de563568f,@object ; @__hip_cuid_c8c8fb0de563568f
	.section	.bss,"aw",@nobits
	.globl	__hip_cuid_c8c8fb0de563568f
__hip_cuid_c8c8fb0de563568f:
	.byte	0                               ; 0x0
	.size	__hip_cuid_c8c8fb0de563568f, 1

	.ident	"AMD clang version 19.0.0git (https://github.com/RadeonOpenCompute/llvm-project roc-6.4.0 25133 c7fe45cf4b819c5991fe208aaa96edf142730f1d)"
	.section	".note.GNU-stack","",@progbits
	.addrsig
	.addrsig_sym __hip_cuid_c8c8fb0de563568f
	.amdgpu_metadata
---
amdhsa.kernels:
  - .args:
      - .actual_access:  read_only
        .address_space:  global
        .offset:         0
        .size:           8
        .value_kind:     global_buffer
      - .address_space:  global
        .offset:         8
        .size:           8
        .value_kind:     global_buffer
      - .actual_access:  read_only
        .address_space:  global
        .offset:         16
        .size:           8
        .value_kind:     global_buffer
      - .actual_access:  read_only
        .address_space:  global
        .offset:         24
        .size:           8
        .value_kind:     global_buffer
      - .actual_access:  read_only
        .address_space:  global
        .offset:         32
        .size:           8
        .value_kind:     global_buffer
      - .offset:         40
        .size:           8
        .value_kind:     by_value
      - .actual_access:  read_only
        .address_space:  global
        .offset:         48
        .size:           8
        .value_kind:     global_buffer
      - .actual_access:  read_only
        .address_space:  global
        .offset:         56
        .size:           8
        .value_kind:     global_buffer
      - .offset:         64
        .size:           4
        .value_kind:     by_value
      - .actual_access:  read_only
        .address_space:  global
        .offset:         72
        .size:           8
        .value_kind:     global_buffer
      - .actual_access:  read_only
        .address_space:  global
        .offset:         80
        .size:           8
        .value_kind:     global_buffer
      - .address_space:  global
        .offset:         88
        .size:           8
        .value_kind:     global_buffer
      - .address_space:  global
        .offset:         96
        .size:           8
        .value_kind:     global_buffer
    .group_segment_fixed_size: 0
    .kernarg_segment_align: 8
    .kernarg_segment_size: 104
    .language:       OpenCL C
    .language_version:
      - 2
      - 0
    .max_flat_workgroup_size: 252
    .name:           fft_rtc_fwd_len336_factors_7_8_2_3_wgs_252_tpt_42_halfLds_dim3_dp_op_CI_CI_sbcc_twdbase8_2step_dirReg_intrinsicReadWrite
    .private_segment_fixed_size: 0
    .sgpr_count:     50
    .sgpr_spill_count: 0
    .symbol:         fft_rtc_fwd_len336_factors_7_8_2_3_wgs_252_tpt_42_halfLds_dim3_dp_op_CI_CI_sbcc_twdbase8_2step_dirReg_intrinsicReadWrite.kd
    .uniform_work_group_size: 1
    .uses_dynamic_stack: false
    .vgpr_count:     127
    .vgpr_spill_count: 0
    .wavefront_size: 64
amdhsa.target:   amdgcn-amd-amdhsa--gfx906
amdhsa.version:
  - 1
  - 2
...

	.end_amdgpu_metadata
